;; amdgpu-corpus repo=ROCm/rocFFT kind=compiled arch=gfx906 opt=O3
	.text
	.amdgcn_target "amdgcn-amd-amdhsa--gfx906"
	.amdhsa_code_object_version 6
	.protected	bluestein_single_fwd_len90_dim1_sp_op_CI_CI ; -- Begin function bluestein_single_fwd_len90_dim1_sp_op_CI_CI
	.globl	bluestein_single_fwd_len90_dim1_sp_op_CI_CI
	.p2align	8
	.type	bluestein_single_fwd_len90_dim1_sp_op_CI_CI,@function
bluestein_single_fwd_len90_dim1_sp_op_CI_CI: ; @bluestein_single_fwd_len90_dim1_sp_op_CI_CI
; %bb.0:
	v_mul_u32_u24_e32 v1, 0x1c72, v0
	s_load_dwordx4 s[12:15], s[4:5], 0x28
	v_lshrrev_b32_e32 v1, 16, v1
	v_mad_u64_u32 v[66:67], s[0:1], s6, 7, v[1:2]
	v_mov_b32_e32 v67, 0
	s_waitcnt lgkmcnt(0)
	v_cmp_gt_u64_e32 vcc, s[12:13], v[66:67]
	s_and_saveexec_b64 s[0:1], vcc
	s_cbranch_execz .LBB0_23
; %bb.1:
	s_load_dwordx4 s[0:3], s[4:5], 0x18
	s_load_dwordx2 s[12:13], s[4:5], 0x0
	v_mul_lo_u16_e32 v1, 9, v1
	v_sub_u16_e32 v81, v0, v1
	v_lshlrev_b32_e32 v22, 3, v81
	s_waitcnt lgkmcnt(0)
	s_load_dwordx4 s[8:11], s[0:1], 0x0
	v_or_b32_e32 v80, 48, v81
	global_load_dwordx2 v[73:74], v22, s[12:13] offset:240
	global_load_dwordx2 v[67:68], v22, s[12:13] offset:480
	s_waitcnt lgkmcnt(0)
	v_mad_u64_u32 v[0:1], s[0:1], s10, v66, 0
	v_mad_u64_u32 v[2:3], s[0:1], s8, v81, 0
	v_mad_u64_u32 v[4:5], s[0:1], s11, v66, v[1:2]
	v_mad_u64_u32 v[5:6], s[0:1], s9, v81, v[3:4]
	v_mov_b32_e32 v1, v4
	v_lshlrev_b64 v[0:1], 3, v[0:1]
	v_mov_b32_e32 v6, s15
	v_mov_b32_e32 v3, v5
	v_add_co_u32_e32 v20, vcc, s14, v0
	v_addc_co_u32_e32 v21, vcc, v6, v1, vcc
	v_lshlrev_b64 v[0:1], 3, v[2:3]
	s_mul_i32 s0, s9, 30
	v_add_co_u32_e32 v0, vcc, v20, v0
	v_addc_co_u32_e32 v1, vcc, v21, v1, vcc
	global_load_dwordx2 v[2:3], v[0:1], off
	s_mul_hi_u32 s1, s8, 30
	s_add_i32 s1, s1, s0
	s_mul_i32 s0, s8, 30
	s_lshl_b64 s[14:15], s[0:1], 3
	v_mov_b32_e32 v18, s15
	v_add_co_u32_e32 v0, vcc, s14, v0
	s_mul_hi_u32 s1, s8, 0xffffffcd
	v_addc_co_u32_e32 v1, vcc, v1, v18, vcc
	s_mul_i32 s0, s9, 0xffffffcd
	s_sub_i32 s1, s1, s8
	v_add_co_u32_e32 v4, vcc, s14, v0
	s_add_i32 s1, s1, s0
	s_mul_i32 s0, s8, 0xffffffcd
	v_addc_co_u32_e32 v5, vcc, v1, v18, vcc
	s_lshl_b64 s[0:1], s[0:1], 3
	v_mov_b32_e32 v19, s1
	v_add_co_u32_e32 v6, vcc, s0, v4
	v_addc_co_u32_e32 v7, vcc, v5, v19, vcc
	v_add_co_u32_e32 v8, vcc, s14, v6
	global_load_dwordx2 v[75:76], v22, s[12:13]
	global_load_dwordx2 v[71:72], v22, s[12:13] offset:72
	v_addc_co_u32_e32 v9, vcc, v7, v18, vcc
	global_load_dwordx2 v[10:11], v[0:1], off
	global_load_dwordx2 v[12:13], v[4:5], off
	;; [unrolled: 1-line block ×4, first 2 shown]
	global_load_dwordx2 v[60:61], v22, s[12:13] offset:312
	v_mad_u64_u32 v[0:1], s[6:7], s8, v80, 0
	v_add_co_u32_e32 v4, vcc, s14, v8
	v_addc_co_u32_e32 v5, vcc, v9, v18, vcc
	global_load_dwordx2 v[6:7], v[4:5], off
	global_load_dwordx2 v[69:70], v22, s[12:13] offset:552
	v_add_co_u32_e32 v4, vcc, s0, v4
	v_addc_co_u32_e32 v5, vcc, v5, v19, vcc
	global_load_dwordx2 v[18:19], v[4:5], off
	global_load_dwordx2 v[64:65], v22, s[12:13] offset:144
	global_load_dwordx2 v[62:63], v22, s[12:13] offset:384
	s_waitcnt vmcnt(12)
	v_mad_u64_u32 v[8:9], s[6:7], s9, v80, v[1:2]
	v_mov_b32_e32 v1, v8
	v_lshlrev_b64 v[0:1], 3, v[0:1]
	v_add_co_u32_e32 v0, vcc, v20, v0
	v_addc_co_u32_e32 v1, vcc, v21, v1, vcc
	global_load_dwordx2 v[8:9], v[0:1], off
	v_mov_b32_e32 v0, 0x1e0
	v_mad_u64_u32 v[0:1], s[6:7], s8, v0, v[4:5]
	s_mul_i32 s6, s9, 0x1e0
	v_add_co_u32_e32 v56, vcc, s12, v22
	v_add_u32_e32 v1, s6, v1
	global_load_dwordx2 v[4:5], v[0:1], off
	global_load_dwordx2 v[58:59], v22, s[12:13] offset:624
	s_mov_b32 s6, 0x24924925
	v_mul_hi_u32 v20, v66, s6
	s_load_dwordx2 s[6:7], s[4:5], 0x38
	s_load_dwordx4 s[8:11], s[2:3], 0x0
	v_sub_u32_e32 v21, v66, v20
	v_lshrrev_b32_e32 v21, 1, v21
	v_add_u32_e32 v20, v21, v20
	v_lshrrev_b32_e32 v20, 2, v20
	v_mul_lo_u32 v20, v20, 7
	v_sub_u32_e32 v20, v66, v20
	v_mul_u32_u24_e32 v21, 0x5a, v20
	v_mov_b32_e32 v20, s13
	v_addc_co_u32_e32 v57, vcc, 0, v20, vcc
	s_waitcnt vmcnt(14)
	v_mul_f32_e32 v20, v3, v76
	v_fmac_f32_e32 v20, v2, v75
	v_mul_f32_e32 v2, v2, v76
	v_lshlrev_b32_e32 v82, 3, v21
	v_fma_f32 v21, v3, v75, -v2
	s_waitcnt vmcnt(12)
	v_mul_f32_e32 v2, v11, v74
	v_mul_f32_e32 v3, v10, v74
	v_add_u32_e32 v79, v22, v82
	v_fmac_f32_e32 v2, v10, v73
	v_fma_f32 v3, v11, v73, -v3
	ds_write_b64 v79, v[2:3] offset:240
	s_waitcnt vmcnt(11)
	v_mul_f32_e32 v2, v13, v68
	v_mul_f32_e32 v3, v12, v68
	s_waitcnt vmcnt(6)
	v_mul_f32_e32 v10, v7, v70
	v_fmac_f32_e32 v2, v12, v67
	v_fma_f32 v3, v13, v67, -v3
	v_fmac_f32_e32 v10, v6, v69
	v_mul_f32_e32 v6, v6, v70
	ds_write_b64 v79, v[2:3] offset:480
	v_mul_f32_e32 v2, v15, v72
	v_mul_f32_e32 v3, v14, v72
	v_fma_f32 v11, v7, v69, -v6
	s_waitcnt vmcnt(4)
	v_mul_f32_e32 v6, v19, v65
	v_mul_f32_e32 v7, v18, v65
	v_fmac_f32_e32 v2, v14, v71
	v_fma_f32 v3, v15, v71, -v3
	v_fmac_f32_e32 v6, v18, v64
	v_fma_f32 v7, v19, v64, -v7
	ds_write2_b64 v79, v[20:21], v[2:3] offset1:9
	v_mul_f32_e32 v2, v17, v61
	v_mul_f32_e32 v3, v16, v61
	ds_write_b64 v79, v[6:7] offset:144
	v_fmac_f32_e32 v2, v16, v60
	v_fma_f32 v3, v17, v60, -v3
	v_cmp_gt_u16_e32 vcc, 3, v81
	s_waitcnt vmcnt(2)
	v_mul_f32_e32 v6, v9, v63
	v_mul_f32_e32 v7, v8, v63
	v_fmac_f32_e32 v6, v8, v62
	v_fma_f32 v7, v9, v62, -v7
	ds_write2_b64 v79, v[2:3], v[6:7] offset0:39 offset1:48
	s_waitcnt vmcnt(0)
	v_mul_f32_e32 v2, v5, v59
	v_mul_f32_e32 v3, v4, v59
	v_fmac_f32_e32 v2, v4, v58
	v_fma_f32 v3, v5, v58, -v3
	ds_write2_b64 v79, v[10:11], v[2:3] offset0:69 offset1:78
	s_and_saveexec_b64 s[2:3], vcc
	s_cbranch_execz .LBB0_3
; %bb.2:
	v_mov_b32_e32 v2, s1
	v_add_co_u32_e64 v0, s[0:1], s0, v0
	v_addc_co_u32_e64 v1, s[0:1], v1, v2, s[0:1]
	global_load_dwordx2 v[2:3], v[0:1], off
	v_mov_b32_e32 v10, s15
	v_add_co_u32_e64 v0, s[0:1], s14, v0
	v_addc_co_u32_e64 v1, s[0:1], v1, v10, s[0:1]
	global_load_dwordx2 v[4:5], v[56:57], off offset:216
	global_load_dwordx2 v[6:7], v[0:1], off
	global_load_dwordx2 v[8:9], v[56:57], off offset:456
	v_add_co_u32_e64 v0, s[0:1], s14, v0
	v_addc_co_u32_e64 v1, s[0:1], v1, v10, s[0:1]
	global_load_dwordx2 v[10:11], v[56:57], off offset:696
	global_load_dwordx2 v[12:13], v[0:1], off
	s_waitcnt vmcnt(4)
	v_mul_f32_e32 v0, v3, v5
	v_mul_f32_e32 v1, v2, v5
	v_fmac_f32_e32 v0, v2, v4
	v_fma_f32 v1, v3, v4, -v1
	s_waitcnt vmcnt(2)
	v_mul_f32_e32 v2, v7, v9
	v_mul_f32_e32 v3, v6, v9
	v_fmac_f32_e32 v2, v6, v8
	s_waitcnt vmcnt(0)
	v_mul_f32_e32 v4, v13, v11
	v_mul_f32_e32 v5, v12, v11
	v_fma_f32 v3, v7, v8, -v3
	v_fmac_f32_e32 v4, v12, v10
	v_fma_f32 v5, v13, v10, -v5
	ds_write2_b64 v79, v[0:1], v[2:3] offset0:27 offset1:57
	ds_write_b64 v79, v[4:5] offset:696
.LBB0_3:
	s_or_b64 exec, exec, s[2:3]
	s_waitcnt lgkmcnt(0)
	; wave barrier
	s_waitcnt lgkmcnt(0)
	ds_read2_b64 v[4:7], v79 offset1:9
	ds_read2_b64 v[0:3], v79 offset0:18 offset1:30
	ds_read2_b64 v[12:15], v79 offset0:60 offset1:69
	;; [unrolled: 1-line block ×3, first 2 shown]
	ds_read_b64 v[16:17], v79 offset:624
                                        ; implicit-def: $vgpr20
                                        ; implicit-def: $vgpr24
	s_and_saveexec_b64 s[0:1], vcc
	s_cbranch_execz .LBB0_5
; %bb.4:
	ds_read2_b64 v[20:23], v79 offset0:27 offset1:57
	ds_read_b64 v[24:25], v79 offset:696
.LBB0_5:
	s_or_b64 exec, exec, s[0:1]
	s_waitcnt lgkmcnt(3)
	v_add_f32_e32 v18, v4, v2
	s_waitcnt lgkmcnt(2)
	v_add_f32_e32 v26, v18, v12
	v_add_f32_e32 v18, v2, v12
	v_fma_f32 v4, -0.5, v18, v4
	v_sub_f32_e32 v18, v3, v13
	v_mov_b32_e32 v28, v4
	v_fmac_f32_e32 v28, 0x3f5db3d7, v18
	v_fmac_f32_e32 v4, 0xbf5db3d7, v18
	v_add_f32_e32 v18, v5, v3
	v_add_f32_e32 v3, v3, v13
	v_fma_f32 v5, -0.5, v3, v5
	v_sub_f32_e32 v2, v2, v12
	v_mov_b32_e32 v29, v5
	s_waitcnt lgkmcnt(1)
	v_add_f32_e32 v3, v8, v14
	v_fmac_f32_e32 v29, 0xbf5db3d7, v2
	v_fmac_f32_e32 v5, 0x3f5db3d7, v2
	v_add_f32_e32 v2, v6, v8
	v_fma_f32 v6, -0.5, v3, v6
	v_sub_f32_e32 v3, v9, v15
	v_mov_b32_e32 v12, v6
	v_fmac_f32_e32 v12, 0x3f5db3d7, v3
	v_fmac_f32_e32 v6, 0xbf5db3d7, v3
	v_add_f32_e32 v3, v7, v9
	v_add_f32_e32 v9, v9, v15
	v_fmac_f32_e32 v7, -0.5, v9
	v_add_f32_e32 v27, v18, v13
	v_sub_f32_e32 v8, v8, v14
	v_mov_b32_e32 v13, v7
	s_waitcnt lgkmcnt(0)
	v_add_f32_e32 v9, v10, v16
	v_fmac_f32_e32 v13, 0xbf5db3d7, v8
	v_fmac_f32_e32 v7, 0x3f5db3d7, v8
	v_add_f32_e32 v8, v0, v10
	v_fma_f32 v0, -0.5, v9, v0
	v_add_f32_e32 v2, v2, v14
	v_sub_f32_e32 v9, v11, v17
	v_mov_b32_e32 v14, v0
	v_fmac_f32_e32 v14, 0x3f5db3d7, v9
	v_fmac_f32_e32 v0, 0xbf5db3d7, v9
	v_add_f32_e32 v9, v1, v11
	v_add_f32_e32 v11, v11, v17
	v_fmac_f32_e32 v1, -0.5, v11
	v_add_f32_e32 v3, v3, v15
	v_sub_f32_e32 v10, v10, v16
	v_mov_b32_e32 v15, v1
	v_fmac_f32_e32 v15, 0xbf5db3d7, v10
	v_fmac_f32_e32 v1, 0x3f5db3d7, v10
	v_add_f32_e32 v10, v20, v22
	v_add_f32_e32 v8, v8, v16
	v_add_f32_e32 v16, v10, v24
	v_add_f32_e32 v10, v22, v24
	v_fmac_f32_e32 v20, -0.5, v10
	v_sub_f32_e32 v10, v23, v25
	v_mov_b32_e32 v18, v20
	v_fmac_f32_e32 v18, 0x3f5db3d7, v10
	v_fmac_f32_e32 v20, 0xbf5db3d7, v10
	v_add_f32_e32 v10, v21, v23
	v_add_f32_e32 v9, v9, v17
	v_add_f32_e32 v17, v10, v25
	v_add_f32_e32 v10, v23, v25
	v_fmac_f32_e32 v21, -0.5, v10
	v_sub_f32_e32 v10, v22, v24
	v_mov_b32_e32 v19, v21
	v_fmac_f32_e32 v19, 0xbf5db3d7, v10
	v_fmac_f32_e32 v21, 0x3f5db3d7, v10
	v_mul_lo_u16_e32 v10, 3, v81
	s_load_dwordx2 s[2:3], s[4:5], 0x8
	v_add_co_u32_e64 v41, s[0:1], 9, v81
	v_lshl_add_u32 v84, v10, 3, v82
	s_waitcnt lgkmcnt(0)
	; wave barrier
	s_waitcnt lgkmcnt(0)
	ds_write2_b64 v84, v[26:27], v[28:29] offset1:1
	ds_write_b64 v84, v[4:5] offset:16
	v_mul_u32_u24_e32 v4, 3, v41
	v_add_co_u32_e64 v42, s[0:1], 18, v81
	v_lshl_add_u32 v85, v4, 3, v82
	v_add_co_u32_e64 v40, s[0:1], 27, v81
	ds_write2_b64 v85, v[2:3], v[12:13] offset1:1
	ds_write_b64 v85, v[6:7] offset:16
	v_mul_u32_u24_e32 v2, 3, v42
	v_lshl_add_u32 v86, v2, 3, v82
	v_mul_u32_u24_e32 v87, 3, v40
	ds_write2_b64 v86, v[8:9], v[14:15] offset1:1
	ds_write_b64 v86, v[0:1] offset:16
	s_and_saveexec_b64 s[0:1], vcc
	s_cbranch_execz .LBB0_7
; %bb.6:
	v_lshl_add_u32 v0, v87, 3, v82
	ds_write2_b64 v0, v[16:17], v[18:19] offset1:1
	ds_write_b64 v0, v[20:21] offset:16
.LBB0_7:
	s_or_b64 exec, exec, s[0:1]
	s_waitcnt lgkmcnt(0)
	; wave barrier
	s_waitcnt lgkmcnt(0)
	ds_read2_b64 v[26:29], v79 offset1:9
	ds_read2_b64 v[22:25], v79 offset0:18 offset1:30
	ds_read2_b64 v[30:33], v79 offset0:60 offset1:69
	;; [unrolled: 1-line block ×3, first 2 shown]
	ds_read_b64 v[38:39], v79 offset:624
	s_and_saveexec_b64 s[0:1], vcc
	s_cbranch_execz .LBB0_9
; %bb.8:
	ds_read2_b64 v[16:19], v79 offset0:27 offset1:57
	ds_read_b64 v[20:21], v79 offset:696
.LBB0_9:
	s_or_b64 exec, exec, s[0:1]
	s_movk_i32 s0, 0xab
	v_mul_lo_u16_sdwa v0, v81, s0 dst_sel:DWORD dst_unused:UNUSED_PAD src0_sel:BYTE_0 src1_sel:DWORD
	v_lshrrev_b16_e32 v44, 9, v0
	v_mul_lo_u16_sdwa v1, v41, s0 dst_sel:DWORD dst_unused:UNUSED_PAD src0_sel:BYTE_0 src1_sel:DWORD
	v_mul_lo_u16_e32 v0, 3, v44
	v_mul_lo_u16_sdwa v2, v42, s0 dst_sel:DWORD dst_unused:UNUSED_PAD src0_sel:BYTE_0 src1_sel:DWORD
	v_lshrrev_b16_e32 v48, 9, v1
	v_sub_u16_e32 v45, v81, v0
	v_lshrrev_b16_e32 v46, 9, v2
	v_mul_lo_u16_e32 v1, 3, v48
	v_lshlrev_b16_e32 v0, 1, v45
	v_mul_lo_u16_e32 v2, 3, v46
	v_sub_u16_e32 v49, v41, v1
	v_and_b32_e32 v0, 0xfe, v0
	v_sub_u16_e32 v47, v42, v2
	v_mov_b32_e32 v2, 4
	v_lshlrev_b16_e32 v1, 1, v49
	v_lshlrev_b32_e32 v0, 3, v0
	v_lshlrev_b32_sdwa v2, v2, v47 dst_sel:DWORD dst_unused:UNUSED_PAD src0_sel:DWORD src1_sel:BYTE_0
	v_and_b32_e32 v1, 0xfe, v1
	global_load_dwordx4 v[4:7], v2, s[2:3]
	v_lshlrev_b32_e32 v1, 3, v1
	global_load_dwordx4 v[12:15], v0, s[2:3]
	global_load_dwordx4 v[8:11], v1, s[2:3]
	v_mul_lo_u16_sdwa v0, v40, s0 dst_sel:DWORD dst_unused:UNUSED_PAD src0_sel:BYTE_0 src1_sel:DWORD
	v_lshrrev_b16_e32 v0, 9, v0
	v_mul_lo_u16_e32 v0, 3, v0
	v_sub_u16_e32 v83, v40, v0
	v_lshlrev_b16_e32 v0, 1, v83
	v_and_b32_e32 v0, 0xfe, v0
	v_lshlrev_b32_e32 v0, 3, v0
	global_load_dwordx4 v[0:3], v0, s[2:3]
	s_waitcnt lgkmcnt(0)
	; wave barrier
	s_waitcnt vmcnt(3) lgkmcnt(0)
	v_mul_f32_e32 v40, v37, v5
	v_mul_f32_e32 v41, v39, v7
	;; [unrolled: 1-line block ×3, first 2 shown]
	v_fma_f32 v51, v36, v4, -v40
	v_fma_f32 v52, v38, v6, -v41
	v_fmac_f32_e32 v50, v39, v6
	s_waitcnt vmcnt(2)
	v_mul_f32_e32 v38, v25, v13
	v_mul_f32_e32 v39, v24, v13
	;; [unrolled: 1-line block ×5, first 2 shown]
	s_waitcnt vmcnt(1)
	v_mul_f32_e32 v42, v35, v9
	v_mul_f32_e32 v53, v34, v9
	;; [unrolled: 1-line block ×4, first 2 shown]
	s_waitcnt vmcnt(0)
	v_mul_f32_e32 v36, v18, v1
	v_fma_f32 v38, v24, v12, -v38
	v_fmac_f32_e32 v39, v25, v12
	v_fma_f32 v25, v30, v14, -v40
	v_fmac_f32_e32 v41, v31, v14
	v_fmac_f32_e32 v43, v37, v4
	v_mul_f32_e32 v77, v19, v1
	v_mul_f32_e32 v37, v20, v3
	v_fma_f32 v30, v34, v8, -v42
	v_fmac_f32_e32 v53, v35, v8
	v_fma_f32 v32, v32, v10, -v54
	v_fmac_f32_e32 v55, v33, v10
	v_fmac_f32_e32 v36, v19, v0
	v_add_f32_e32 v19, v38, v25
	v_add_f32_e32 v31, v27, v39
	;; [unrolled: 1-line block ×3, first 2 shown]
	v_mul_f32_e32 v78, v21, v3
	v_fma_f32 v24, v18, v0, -v77
	v_fmac_f32_e32 v37, v21, v2
	v_add_f32_e32 v18, v26, v38
	v_sub_f32_e32 v21, v39, v41
	v_sub_f32_e32 v40, v38, v25
	v_add_f32_e32 v34, v28, v30
	v_add_f32_e32 v35, v30, v32
	v_sub_f32_e32 v42, v53, v55
	v_add_f32_e32 v38, v29, v53
	v_add_f32_e32 v39, v53, v55
	v_sub_f32_e32 v53, v30, v32
	v_fma_f32 v30, -0.5, v19, v26
	v_add_f32_e32 v26, v31, v41
	v_fma_f32 v31, -0.5, v33, v27
	v_add_f32_e32 v25, v18, v25
	v_fma_f32 v28, -0.5, v35, v28
	v_mov_b32_e32 v35, v31
	v_add_f32_e32 v18, v22, v51
	v_fmac_f32_e32 v31, 0x3f5db3d7, v40
	v_fmac_f32_e32 v35, 0xbf5db3d7, v40
	v_add_f32_e32 v40, v18, v52
	v_add_f32_e32 v18, v51, v52
	;; [unrolled: 1-line block ×3, first 2 shown]
	v_mov_b32_e32 v38, v28
	v_fma_f32 v22, -0.5, v18, v22
	v_fmac_f32_e32 v28, 0xbf5db3d7, v42
	v_fmac_f32_e32 v38, 0x3f5db3d7, v42
	v_sub_f32_e32 v18, v43, v50
	v_mov_b32_e32 v42, v22
	v_fmac_f32_e32 v42, 0x3f5db3d7, v18
	v_fmac_f32_e32 v22, 0xbf5db3d7, v18
	v_add_f32_e32 v18, v23, v43
	v_add_f32_e32 v41, v18, v50
	;; [unrolled: 1-line block ×3, first 2 shown]
	v_fmac_f32_e32 v23, -0.5, v18
	v_fma_f32 v20, v20, v2, -v78
	v_sub_f32_e32 v18, v51, v52
	v_mov_b32_e32 v43, v23
	v_fmac_f32_e32 v43, 0xbf5db3d7, v18
	v_fmac_f32_e32 v23, 0x3f5db3d7, v18
	v_add_f32_e32 v18, v24, v20
	v_fma_f32 v52, -0.5, v18, v16
	v_fmac_f32_e32 v29, -0.5, v39
	v_sub_f32_e32 v19, v36, v37
	v_mov_b32_e32 v18, v52
	v_mov_b32_e32 v39, v29
	v_fmac_f32_e32 v18, 0x3f5db3d7, v19
	v_fmac_f32_e32 v52, 0xbf5db3d7, v19
	v_add_f32_e32 v19, v36, v37
	v_add_f32_e32 v32, v34, v32
	v_mov_b32_e32 v34, v30
	v_fmac_f32_e32 v39, 0xbf5db3d7, v53
	v_fmac_f32_e32 v29, 0x3f5db3d7, v53
	v_fma_f32 v53, -0.5, v19, v17
	v_fmac_f32_e32 v30, 0xbf5db3d7, v21
	v_fmac_f32_e32 v34, 0x3f5db3d7, v21
	v_sub_f32_e32 v21, v24, v20
	v_mov_b32_e32 v19, v53
	v_fmac_f32_e32 v19, 0xbf5db3d7, v21
	v_fmac_f32_e32 v53, 0x3f5db3d7, v21
	v_mad_legacy_u16 v21, v44, 9, v45
	v_and_b32_e32 v21, 0xff, v21
	v_lshl_add_u32 v88, v21, 3, v82
	v_mad_legacy_u16 v21, v48, 9, v49
	v_and_b32_e32 v21, 0xff, v21
	v_lshl_add_u32 v89, v21, 3, v82
	v_mul_u32_u24_e32 v21, 9, v46
	v_add_u32_sdwa v21, v21, v47 dst_sel:DWORD dst_unused:UNUSED_PAD src0_sel:DWORD src1_sel:BYTE_0
	v_lshl_add_u32 v90, v21, 3, v82
	ds_write2_b64 v88, v[25:26], v[34:35] offset1:3
	ds_write_b64 v88, v[30:31] offset:48
	ds_write2_b64 v89, v[32:33], v[38:39] offset1:3
	ds_write_b64 v89, v[28:29] offset:48
	;; [unrolled: 2-line block ×3, first 2 shown]
	s_and_saveexec_b64 s[0:1], vcc
	s_cbranch_execz .LBB0_11
; %bb.10:
	v_add_f32_e32 v16, v16, v24
	v_add_f32_e32 v17, v17, v36
	;; [unrolled: 1-line block ×3, first 2 shown]
	v_and_b32_e32 v20, 0xff, v83
	v_add_f32_e32 v17, v17, v37
	v_lshl_add_u32 v20, v20, 3, v82
	ds_write2_b64 v20, v[16:17], v[18:19] offset0:81 offset1:84
	ds_write_b64 v20, v[52:53] offset:696
.LBB0_11:
	s_or_b64 exec, exec, s[0:1]
	v_mov_b32_e32 v17, s3
	s_movk_i32 s0, 0x48
	v_mov_b32_e32 v16, s2
	v_mad_u64_u32 v[16:17], s[0:1], v81, s0, v[16:17]
	s_waitcnt lgkmcnt(0)
	; wave barrier
	s_waitcnt lgkmcnt(0)
	global_load_dwordx4 v[32:35], v[16:17], off offset:48
	global_load_dwordx4 v[28:31], v[16:17], off offset:64
	;; [unrolled: 1-line block ×4, first 2 shown]
	global_load_dwordx2 v[77:78], v[16:17], off offset:112
	ds_read2_b64 v[36:39], v79 offset1:9
	ds_read2_b64 v[40:43], v79 offset0:18 offset1:27
	ds_read2_b64 v[44:47], v79 offset0:36 offset1:45
	;; [unrolled: 1-line block ×4, first 2 shown]
	s_mov_b32 s2, 0x3f737871
	s_mov_b32 s0, 0xbf737871
	;; [unrolled: 1-line block ×4, first 2 shown]
	s_waitcnt vmcnt(4) lgkmcnt(4)
	v_mul_f32_e32 v16, v39, v33
	v_mul_f32_e32 v17, v38, v33
	s_waitcnt lgkmcnt(3)
	v_mul_f32_e32 v54, v41, v35
	s_waitcnt vmcnt(3)
	v_mul_f32_e32 v95, v43, v29
	s_waitcnt lgkmcnt(2)
	v_mul_f32_e32 v97, v45, v31
	s_waitcnt vmcnt(2) lgkmcnt(1)
	v_mul_f32_e32 v101, v49, v27
	s_waitcnt vmcnt(1) lgkmcnt(0)
	v_mul_f32_e32 v105, v92, v23
	v_mul_f32_e32 v55, v40, v35
	;; [unrolled: 1-line block ×7, first 2 shown]
	v_fma_f32 v16, v38, v32, -v16
	v_fmac_f32_e32 v17, v39, v32
	v_fma_f32 v38, v40, v34, -v54
	v_fma_f32 v39, v42, v28, -v95
	;; [unrolled: 1-line block ×5, first 2 shown]
	v_mul_f32_e32 v99, v47, v25
	v_mul_f32_e32 v102, v48, v27
	;; [unrolled: 1-line block ×3, first 2 shown]
	s_waitcnt vmcnt(0)
	v_mul_f32_e32 v107, v94, v78
	v_fmac_f32_e32 v55, v41, v34
	v_fmac_f32_e32 v96, v43, v28
	v_fmac_f32_e32 v100, v47, v24
	v_fma_f32 v43, v50, v20, -v103
	v_fmac_f32_e32 v104, v51, v20
	v_add_f32_e32 v47, v40, v42
	v_sub_f32_e32 v50, v38, v40
	v_sub_f32_e32 v51, v44, v42
	v_add_f32_e32 v54, v38, v44
	v_mul_f32_e32 v108, v93, v78
	v_fmac_f32_e32 v98, v45, v30
	v_fmac_f32_e32 v102, v49, v26
	;; [unrolled: 1-line block ×3, first 2 shown]
	v_fma_f32 v45, v93, v77, -v107
	v_sub_f32_e32 v91, v40, v38
	v_sub_f32_e32 v92, v42, v44
	v_add_f32_e32 v93, v37, v55
	v_fma_f32 v47, -0.5, v47, v36
	v_add_f32_e32 v50, v50, v51
	v_fma_f32 v51, -0.5, v54, v36
	v_fma_f32 v41, v46, v24, -v99
	v_fmac_f32_e32 v108, v94, v77
	v_add_f32_e32 v46, v36, v38
	v_sub_f32_e32 v48, v55, v106
	v_sub_f32_e32 v49, v98, v102
	v_add_f32_e32 v94, v98, v102
	v_add_f32_e32 v36, v91, v92
	;; [unrolled: 1-line block ×3, first 2 shown]
	v_mov_b32_e32 v92, v47
	v_mov_b32_e32 v93, v51
	v_fma_f32 v91, -0.5, v94, v37
	v_fmac_f32_e32 v47, 0xbf737871, v48
	v_fmac_f32_e32 v51, 0x3f737871, v49
	;; [unrolled: 1-line block ×4, first 2 shown]
	v_sub_f32_e32 v38, v38, v44
	v_add_f32_e32 v46, v46, v40
	v_fmac_f32_e32 v47, 0xbf167918, v49
	v_fmac_f32_e32 v51, 0xbf167918, v48
	;; [unrolled: 1-line block ×4, first 2 shown]
	v_mov_b32_e32 v49, v91
	v_add_f32_e32 v46, v46, v42
	v_fmac_f32_e32 v51, 0x3e9e377a, v36
	v_fmac_f32_e32 v93, 0x3e9e377a, v36
	;; [unrolled: 1-line block ×3, first 2 shown]
	v_sub_f32_e32 v36, v40, v42
	v_sub_f32_e32 v40, v55, v98
	v_sub_f32_e32 v42, v106, v102
	v_fmac_f32_e32 v91, 0x3f737871, v38
	v_fmac_f32_e32 v49, 0xbf167918, v36
	v_add_f32_e32 v40, v40, v42
	v_fmac_f32_e32 v91, 0x3f167918, v36
	v_fmac_f32_e32 v49, 0x3e9e377a, v40
	;; [unrolled: 1-line block ×3, first 2 shown]
	v_add_f32_e32 v40, v55, v106
	v_fma_f32 v95, -0.5, v40, v37
	v_mov_b32_e32 v97, v95
	v_fmac_f32_e32 v97, 0x3f737871, v36
	v_fmac_f32_e32 v95, 0xbf737871, v36
	v_add_f32_e32 v36, v16, v39
	v_add_f32_e32 v36, v36, v41
	;; [unrolled: 1-line block ×6, first 2 shown]
	v_fmac_f32_e32 v47, 0x3e9e377a, v50
	v_fmac_f32_e32 v92, 0x3e9e377a, v50
	v_sub_f32_e32 v37, v98, v55
	v_sub_f32_e32 v40, v102, v106
	v_fma_f32 v50, -0.5, v36, v16
	v_add_f32_e32 v94, v54, v106
	v_fmac_f32_e32 v97, 0xbf167918, v38
	v_add_f32_e32 v37, v37, v40
	v_fmac_f32_e32 v95, 0x3f167918, v38
	v_sub_f32_e32 v36, v96, v108
	v_mov_b32_e32 v54, v50
	v_fmac_f32_e32 v97, 0x3e9e377a, v37
	v_fmac_f32_e32 v95, 0x3e9e377a, v37
	;; [unrolled: 1-line block ×3, first 2 shown]
	v_sub_f32_e32 v37, v100, v104
	v_sub_f32_e32 v38, v39, v41
	;; [unrolled: 1-line block ×3, first 2 shown]
	v_fmac_f32_e32 v50, 0xbf737871, v36
	v_fmac_f32_e32 v54, 0x3f167918, v37
	v_add_f32_e32 v38, v38, v40
	v_fmac_f32_e32 v50, 0xbf167918, v37
	v_fmac_f32_e32 v54, 0x3e9e377a, v38
	;; [unrolled: 1-line block ×3, first 2 shown]
	v_add_f32_e32 v38, v39, v45
	v_fmac_f32_e32 v16, -0.5, v38
	v_mov_b32_e32 v55, v16
	v_fmac_f32_e32 v55, 0xbf737871, v37
	v_fmac_f32_e32 v16, 0x3f737871, v37
	;; [unrolled: 1-line block ×4, first 2 shown]
	v_add_f32_e32 v36, v17, v96
	v_add_f32_e32 v36, v36, v100
	;; [unrolled: 1-line block ×5, first 2 shown]
	v_sub_f32_e32 v38, v41, v39
	v_sub_f32_e32 v40, v43, v45
	v_fma_f32 v99, -0.5, v36, v17
	v_add_f32_e32 v38, v38, v40
	v_sub_f32_e32 v36, v39, v45
	v_mov_b32_e32 v39, v99
	v_fmac_f32_e32 v55, 0x3e9e377a, v38
	v_fmac_f32_e32 v16, 0x3e9e377a, v38
	;; [unrolled: 1-line block ×3, first 2 shown]
	v_sub_f32_e32 v37, v41, v43
	v_sub_f32_e32 v38, v96, v100
	;; [unrolled: 1-line block ×3, first 2 shown]
	v_fmac_f32_e32 v99, 0x3f737871, v36
	v_fmac_f32_e32 v39, 0xbf167918, v37
	v_add_f32_e32 v38, v38, v40
	v_fmac_f32_e32 v99, 0x3f167918, v37
	v_fmac_f32_e32 v39, 0x3e9e377a, v38
	;; [unrolled: 1-line block ×3, first 2 shown]
	v_add_f32_e32 v38, v96, v108
	v_fmac_f32_e32 v17, -0.5, v38
	v_mov_b32_e32 v41, v17
	v_sub_f32_e32 v38, v100, v96
	v_sub_f32_e32 v40, v104, v108
	v_fmac_f32_e32 v17, 0xbf737871, v37
	v_fmac_f32_e32 v41, 0x3f737871, v37
	v_add_f32_e32 v38, v38, v40
	v_fmac_f32_e32 v17, 0x3f167918, v36
	v_fmac_f32_e32 v41, 0xbf167918, v36
	;; [unrolled: 1-line block ×3, first 2 shown]
	v_mul_f32_e32 v37, 0x3e9e377a, v16
	v_fmac_f32_e32 v41, 0x3e9e377a, v38
	v_fma_f32 v101, v17, s2, -v37
	v_mul_f32_e32 v17, 0x3e9e377a, v17
	v_mul_f32_e32 v96, 0x3f167918, v39
	;; [unrolled: 1-line block ×5, first 2 shown]
	v_fma_f32 v17, v16, s0, -v17
	v_mul_f32_e32 v16, 0x3f4f1bbd, v99
	v_add_f32_e32 v46, v46, v44
	v_fmac_f32_e32 v96, 0x3f4f1bbd, v54
	v_fmac_f32_e32 v100, 0x3e9e377a, v55
	v_fma_f32 v102, v99, s3, -v37
	v_fmac_f32_e32 v103, 0x3f4f1bbd, v39
	v_mul_f32_e32 v55, 0xbf737871, v55
	v_fma_f32 v99, v50, s1, -v16
	v_add_f32_e32 v36, v46, v48
	v_add_f32_e32 v38, v92, v96
	;; [unrolled: 1-line block ×4, first 2 shown]
	v_fmac_f32_e32 v55, 0x3e9e377a, v41
	v_add_f32_e32 v45, v91, v99
	v_sub_f32_e32 v46, v46, v48
	v_add_f32_e32 v40, v93, v100
	v_add_f32_e32 v42, v51, v101
	;; [unrolled: 1-line block ×5, first 2 shown]
	v_sub_f32_e32 v48, v92, v96
	v_sub_f32_e32 v50, v93, v100
	;; [unrolled: 1-line block ×9, first 2 shown]
	ds_write2_b64 v79, v[36:37], v[38:39] offset1:9
	ds_write2_b64 v79, v[40:41], v[42:43] offset0:18 offset1:27
	ds_write2_b64 v79, v[44:45], v[46:47] offset0:36 offset1:45
	;; [unrolled: 1-line block ×4, first 2 shown]
	s_waitcnt lgkmcnt(0)
	; wave barrier
	s_waitcnt lgkmcnt(0)
	global_load_dwordx2 v[45:46], v[56:57], off offset:720
	s_add_u32 s0, s12, 0x2d0
	s_addc_u32 s1, s13, 0
	v_lshlrev_b32_e32 v36, 3, v81
	global_load_dwordx2 v[49:50], v36, s[0:1] offset:240
	global_load_dwordx2 v[54:55], v36, s[0:1] offset:480
	;; [unrolled: 1-line block ×8, first 2 shown]
	ds_read2_b64 v[37:40], v79 offset1:9
	ds_read2_b64 v[41:44], v79 offset0:18 offset1:30
	s_waitcnt vmcnt(5) lgkmcnt(1)
	v_mul_f32_e32 v51, v40, v92
	v_mul_f32_e32 v47, v38, v46
	;; [unrolled: 1-line block ×3, first 2 shown]
	v_fma_f32 v103, v37, v45, -v47
	v_fmac_f32_e32 v104, v38, v45
	ds_read2_b64 v[45:48], v79 offset0:60 offset1:69
	s_waitcnt lgkmcnt(1)
	v_mul_f32_e32 v37, v44, v50
	v_fma_f32 v37, v43, v49, -v37
	v_mul_f32_e32 v38, v43, v50
	v_fmac_f32_e32 v38, v44, v49
	s_waitcnt lgkmcnt(0)
	v_mul_f32_e32 v43, v46, v55
	v_mul_f32_e32 v50, v45, v55
	v_fma_f32 v49, v45, v54, -v43
	v_fmac_f32_e32 v50, v46, v54
	ds_read2_b64 v[43:46], v79 offset0:39 offset1:48
	v_mul_f32_e32 v55, v39, v92
	v_fma_f32 v54, v39, v91, -v51
	v_fmac_f32_e32 v55, v40, v91
	ds_write2_b64 v79, v[103:104], v[54:55] offset1:9
	s_waitcnt vmcnt(4) lgkmcnt(1)
	v_mul_f32_e32 v39, v44, v94
	v_mul_f32_e32 v40, v43, v94
	v_fma_f32 v39, v43, v93, -v39
	v_fmac_f32_e32 v40, v44, v93
	s_waitcnt vmcnt(3)
	v_mul_f32_e32 v43, v48, v96
	v_mul_f32_e32 v44, v47, v96
	v_fma_f32 v43, v47, v95, -v43
	v_fmac_f32_e32 v44, v48, v95
	ds_write2_b64 v79, v[49:50], v[43:44] offset0:60 offset1:69
	s_waitcnt vmcnt(2)
	v_mul_f32_e32 v43, v42, v98
	v_mul_f32_e32 v44, v41, v98
	v_fma_f32 v43, v41, v97, -v43
	v_fmac_f32_e32 v44, v42, v97
	ds_write2_b64 v79, v[43:44], v[37:38] offset0:18 offset1:30
	ds_read_b64 v[37:38], v79 offset:624
	s_waitcnt vmcnt(1)
	v_mul_f32_e32 v41, v46, v100
	v_mul_f32_e32 v42, v45, v100
	v_fma_f32 v41, v45, v99, -v41
	v_fmac_f32_e32 v42, v46, v99
	ds_write2_b64 v79, v[39:40], v[41:42] offset0:39 offset1:48
	s_waitcnt vmcnt(0) lgkmcnt(1)
	v_mul_f32_e32 v39, v38, v102
	v_mul_f32_e32 v40, v37, v102
	v_fma_f32 v39, v37, v101, -v39
	v_fmac_f32_e32 v40, v38, v101
	ds_write_b64 v79, v[39:40] offset:624
	s_and_saveexec_b64 s[2:3], vcc
	s_cbranch_execz .LBB0_13
; %bb.12:
	v_mov_b32_e32 v37, s1
	v_add_co_u32_e64 v36, s[0:1], s0, v36
	v_addc_co_u32_e64 v37, s[0:1], 0, v37, s[0:1]
	global_load_dwordx2 v[40:41], v[36:37], off offset:216
	global_load_dwordx2 v[42:43], v[36:37], off offset:456
	;; [unrolled: 1-line block ×3, first 2 shown]
	ds_read2_b64 v[36:39], v79 offset0:27 offset1:57
	ds_read_b64 v[46:47], v79 offset:696
	s_waitcnt vmcnt(2) lgkmcnt(1)
	v_mul_f32_e32 v48, v37, v41
	v_mul_f32_e32 v49, v36, v41
	s_waitcnt vmcnt(1)
	v_mul_f32_e32 v50, v39, v43
	v_mul_f32_e32 v41, v38, v43
	s_waitcnt vmcnt(0) lgkmcnt(0)
	v_mul_f32_e32 v51, v47, v45
	v_mul_f32_e32 v43, v46, v45
	v_fma_f32 v48, v36, v40, -v48
	v_fmac_f32_e32 v49, v37, v40
	v_fma_f32 v40, v38, v42, -v50
	v_fmac_f32_e32 v41, v39, v42
	;; [unrolled: 2-line block ×3, first 2 shown]
	ds_write2_b64 v79, v[48:49], v[40:41] offset0:27 offset1:57
	ds_write_b64 v79, v[42:43] offset:696
.LBB0_13:
	s_or_b64 exec, exec, s[2:3]
	s_waitcnt lgkmcnt(0)
	; wave barrier
	s_waitcnt lgkmcnt(0)
	ds_read2_b64 v[44:47], v79 offset1:9
	ds_read2_b64 v[40:43], v79 offset0:18 offset1:30
	ds_read2_b64 v[48:51], v79 offset0:60 offset1:69
	;; [unrolled: 1-line block ×3, first 2 shown]
	ds_read_b64 v[54:55], v79 offset:624
	s_and_saveexec_b64 s[0:1], vcc
	s_cbranch_execz .LBB0_15
; %bb.14:
	ds_read2_b64 v[16:19], v79 offset0:27 offset1:57
	ds_read_b64 v[52:53], v79 offset:696
.LBB0_15:
	s_or_b64 exec, exec, s[0:1]
	s_waitcnt lgkmcnt(2)
	v_add_f32_e32 v92, v42, v48
	v_add_f32_e32 v91, v44, v42
	v_fma_f32 v44, -0.5, v92, v44
	v_sub_f32_e32 v92, v43, v49
	v_mov_b32_e32 v93, v44
	v_fmac_f32_e32 v93, 0xbf5db3d7, v92
	v_fmac_f32_e32 v44, 0x3f5db3d7, v92
	v_add_f32_e32 v92, v45, v43
	v_add_f32_e32 v43, v43, v49
	v_fma_f32 v45, -0.5, v43, v45
	v_sub_f32_e32 v42, v42, v48
	v_mov_b32_e32 v94, v45
	s_waitcnt lgkmcnt(1)
	v_add_f32_e32 v43, v36, v50
	v_fmac_f32_e32 v94, 0x3f5db3d7, v42
	v_fmac_f32_e32 v45, 0xbf5db3d7, v42
	v_add_f32_e32 v42, v46, v36
	v_fma_f32 v46, -0.5, v43, v46
	v_add_f32_e32 v91, v91, v48
	v_sub_f32_e32 v43, v37, v51
	v_mov_b32_e32 v48, v46
	v_fmac_f32_e32 v48, 0xbf5db3d7, v43
	v_fmac_f32_e32 v46, 0x3f5db3d7, v43
	v_add_f32_e32 v43, v47, v37
	v_add_f32_e32 v37, v37, v51
	v_fmac_f32_e32 v47, -0.5, v37
	v_add_f32_e32 v92, v92, v49
	v_sub_f32_e32 v36, v36, v50
	v_mov_b32_e32 v49, v47
	v_fmac_f32_e32 v49, 0x3f5db3d7, v36
	v_fmac_f32_e32 v47, 0xbf5db3d7, v36
	v_add_f32_e32 v36, v40, v38
	v_add_f32_e32 v42, v42, v50
	s_waitcnt lgkmcnt(0)
	v_add_f32_e32 v50, v36, v54
	v_add_f32_e32 v36, v38, v54
	v_fma_f32 v40, -0.5, v36, v40
	v_sub_f32_e32 v36, v39, v55
	v_mov_b32_e32 v95, v40
	v_fmac_f32_e32 v95, 0xbf5db3d7, v36
	v_fmac_f32_e32 v40, 0x3f5db3d7, v36
	v_add_f32_e32 v36, v41, v39
	v_add_f32_e32 v43, v43, v51
	v_add_f32_e32 v51, v36, v55
	v_add_f32_e32 v36, v39, v55
	v_fmac_f32_e32 v41, -0.5, v36
	v_sub_f32_e32 v36, v38, v54
	v_mov_b32_e32 v96, v41
	v_add_f32_e32 v37, v18, v52
	v_fmac_f32_e32 v96, 0x3f5db3d7, v36
	v_fmac_f32_e32 v41, 0xbf5db3d7, v36
	v_add_f32_e32 v36, v16, v18
	v_fmac_f32_e32 v16, -0.5, v37
	v_sub_f32_e32 v37, v19, v53
	v_mov_b32_e32 v38, v16
	v_fmac_f32_e32 v38, 0xbf5db3d7, v37
	v_fmac_f32_e32 v16, 0x3f5db3d7, v37
	v_add_f32_e32 v37, v17, v19
	v_add_f32_e32 v19, v19, v53
	v_fmac_f32_e32 v17, -0.5, v19
	v_sub_f32_e32 v18, v18, v52
	v_mov_b32_e32 v39, v17
	v_add_f32_e32 v36, v36, v52
	v_add_f32_e32 v37, v37, v53
	v_fmac_f32_e32 v39, 0x3f5db3d7, v18
	v_fmac_f32_e32 v17, 0xbf5db3d7, v18
	s_waitcnt lgkmcnt(0)
	; wave barrier
	ds_write2_b64 v84, v[91:92], v[93:94] offset1:1
	ds_write_b64 v84, v[44:45] offset:16
	ds_write2_b64 v85, v[42:43], v[48:49] offset1:1
	ds_write_b64 v85, v[46:47] offset:16
	;; [unrolled: 2-line block ×3, first 2 shown]
	s_and_saveexec_b64 s[0:1], vcc
	s_cbranch_execz .LBB0_17
; %bb.16:
	v_lshl_add_u32 v18, v87, 3, v82
	ds_write2_b64 v18, v[36:37], v[38:39] offset1:1
	ds_write_b64 v18, v[16:17] offset:16
.LBB0_17:
	s_or_b64 exec, exec, s[0:1]
	s_waitcnt lgkmcnt(0)
	; wave barrier
	s_waitcnt lgkmcnt(0)
	ds_read2_b64 v[44:47], v79 offset1:9
	ds_read2_b64 v[40:43], v79 offset0:18 offset1:30
	ds_read2_b64 v[52:55], v79 offset0:60 offset1:69
	;; [unrolled: 1-line block ×3, first 2 shown]
	ds_read_b64 v[18:19], v79 offset:624
	s_and_saveexec_b64 s[0:1], vcc
	s_cbranch_execz .LBB0_19
; %bb.18:
	ds_read2_b64 v[36:39], v79 offset0:27 offset1:57
	ds_read_b64 v[16:17], v79 offset:696
.LBB0_19:
	s_or_b64 exec, exec, s[0:1]
	s_waitcnt lgkmcnt(3)
	v_mul_f32_e32 v84, v13, v43
	v_mul_f32_e32 v13, v13, v42
	v_fmac_f32_e32 v84, v12, v42
	v_fma_f32 v12, v12, v43, -v13
	s_waitcnt lgkmcnt(2)
	v_mul_f32_e32 v13, v15, v53
	v_mul_f32_e32 v15, v15, v52
	v_fmac_f32_e32 v13, v14, v52
	v_fma_f32 v14, v14, v53, -v15
	s_waitcnt lgkmcnt(1)
	v_mul_f32_e32 v15, v9, v49
	v_mul_f32_e32 v9, v9, v48
	v_fma_f32 v42, v8, v49, -v9
	v_mul_f32_e32 v49, v5, v51
	v_mul_f32_e32 v5, v5, v50
	;; [unrolled: 1-line block ×3, first 2 shown]
	v_fmac_f32_e32 v49, v4, v50
	v_fma_f32 v50, v4, v51, -v5
	s_waitcnt lgkmcnt(0)
	v_mul_f32_e32 v51, v7, v19
	v_mul_f32_e32 v4, v7, v18
	v_add_f32_e32 v7, v12, v14
	v_fmac_f32_e32 v15, v8, v48
	v_fmac_f32_e32 v43, v10, v54
	v_mul_f32_e32 v8, v11, v54
	v_add_f32_e32 v5, v84, v13
	v_fma_f32 v7, -0.5, v7, v45
	v_fma_f32 v48, v10, v55, -v8
	v_fmac_f32_e32 v51, v6, v18
	v_fma_f32 v19, v6, v19, -v4
	v_fma_f32 v6, -0.5, v5, v44
	v_sub_f32_e32 v10, v84, v13
	v_mov_b32_e32 v9, v7
	v_add_f32_e32 v11, v15, v43
	v_add_f32_e32 v4, v44, v84
	v_sub_f32_e32 v5, v12, v14
	v_mov_b32_e32 v8, v6
	v_fmac_f32_e32 v9, 0x3f5db3d7, v10
	v_fmac_f32_e32 v7, 0xbf5db3d7, v10
	v_add_f32_e32 v10, v46, v15
	v_fma_f32 v46, -0.5, v11, v46
	v_add_f32_e32 v4, v4, v13
	v_fmac_f32_e32 v8, 0xbf5db3d7, v5
	v_fmac_f32_e32 v6, 0x3f5db3d7, v5
	v_add_f32_e32 v5, v45, v12
	v_sub_f32_e32 v11, v42, v48
	v_mov_b32_e32 v12, v46
	v_add_f32_e32 v13, v42, v48
	v_fmac_f32_e32 v12, 0xbf5db3d7, v11
	v_fmac_f32_e32 v46, 0x3f5db3d7, v11
	v_add_f32_e32 v11, v47, v42
	v_fmac_f32_e32 v47, -0.5, v13
	v_add_f32_e32 v5, v5, v14
	v_sub_f32_e32 v14, v15, v43
	v_mov_b32_e32 v13, v47
	v_add_f32_e32 v15, v49, v51
	v_fmac_f32_e32 v13, 0x3f5db3d7, v14
	v_fmac_f32_e32 v47, 0xbf5db3d7, v14
	v_add_f32_e32 v14, v40, v49
	v_fma_f32 v40, -0.5, v15, v40
	v_sub_f32_e32 v15, v50, v19
	v_mov_b32_e32 v18, v40
	v_fmac_f32_e32 v18, 0xbf5db3d7, v15
	v_fmac_f32_e32 v40, 0x3f5db3d7, v15
	v_add_f32_e32 v15, v41, v50
	v_add_f32_e32 v15, v15, v19
	;; [unrolled: 1-line block ×3, first 2 shown]
	v_fmac_f32_e32 v41, -0.5, v19
	v_sub_f32_e32 v42, v49, v51
	v_mov_b32_e32 v19, v41
	v_add_f32_e32 v10, v10, v43
	v_add_f32_e32 v11, v11, v48
	;; [unrolled: 1-line block ×3, first 2 shown]
	v_fmac_f32_e32 v19, 0x3f5db3d7, v42
	v_fmac_f32_e32 v41, 0xbf5db3d7, v42
	s_waitcnt lgkmcnt(0)
	; wave barrier
	ds_write2_b64 v88, v[4:5], v[8:9] offset1:3
	ds_write_b64 v88, v[6:7] offset:48
	ds_write2_b64 v89, v[10:11], v[12:13] offset1:3
	ds_write_b64 v89, v[46:47] offset:48
	;; [unrolled: 2-line block ×3, first 2 shown]
	s_and_saveexec_b64 s[0:1], vcc
	s_cbranch_execz .LBB0_21
; %bb.20:
	v_mul_f32_e32 v4, v1, v38
	v_fma_f32 v5, v0, v39, -v4
	v_mul_f32_e32 v4, v3, v16
	v_fma_f32 v7, v2, v17, -v4
	v_add_f32_e32 v4, v5, v7
	v_mul_f32_e32 v8, v1, v39
	v_mul_f32_e32 v9, v3, v17
	v_fma_f32 v4, -0.5, v4, v37
	v_fmac_f32_e32 v8, v0, v38
	v_fmac_f32_e32 v9, v2, v16
	v_sub_f32_e32 v0, v8, v9
	v_mov_b32_e32 v1, v4
	v_fmac_f32_e32 v1, 0xbf5db3d7, v0
	v_fmac_f32_e32 v4, 0x3f5db3d7, v0
	v_add_f32_e32 v0, v37, v5
	v_add_f32_e32 v6, v0, v7
	;; [unrolled: 1-line block ×3, first 2 shown]
	v_fma_f32 v3, -0.5, v0, v36
	v_sub_f32_e32 v2, v5, v7
	v_mov_b32_e32 v0, v3
	v_fmac_f32_e32 v0, 0x3f5db3d7, v2
	v_fmac_f32_e32 v3, 0xbf5db3d7, v2
	v_add_f32_e32 v2, v36, v8
	v_add_f32_e32 v5, v2, v9
	v_and_b32_e32 v2, 0xff, v83
	v_lshl_add_u32 v2, v2, 3, v82
	ds_write2_b64 v2, v[5:6], v[3:4] offset0:81 offset1:84
	ds_write_b64 v2, v[0:1] offset:696
.LBB0_21:
	s_or_b64 exec, exec, s[0:1]
	s_waitcnt lgkmcnt(0)
	; wave barrier
	s_waitcnt lgkmcnt(0)
	ds_read2_b64 v[0:3], v79 offset1:9
	ds_read2_b64 v[4:7], v79 offset0:18 offset1:27
	ds_read2_b64 v[8:11], v79 offset0:36 offset1:45
	;; [unrolled: 1-line block ×4, first 2 shown]
	s_waitcnt lgkmcnt(4)
	v_mul_f32_e32 v38, v33, v3
	v_fmac_f32_e32 v38, v32, v2
	v_mul_f32_e32 v2, v33, v2
	v_fma_f32 v32, v32, v3, -v2
	s_waitcnt lgkmcnt(3)
	v_mul_f32_e32 v3, v35, v4
	v_mul_f32_e32 v2, v35, v5
	v_fma_f32 v3, v34, v5, -v3
	v_mul_f32_e32 v5, v29, v6
	v_fmac_f32_e32 v2, v34, v4
	v_mul_f32_e32 v4, v29, v7
	v_fma_f32 v5, v28, v7, -v5
	s_waitcnt lgkmcnt(2)
	v_mul_f32_e32 v7, v31, v8
	v_fmac_f32_e32 v4, v28, v6
	v_mul_f32_e32 v6, v31, v9
	v_fma_f32 v7, v30, v9, -v7
	v_mul_f32_e32 v9, v25, v10
	v_fmac_f32_e32 v6, v30, v8
	v_mul_f32_e32 v8, v25, v11
	v_fma_f32 v9, v24, v11, -v9
	s_waitcnt lgkmcnt(1)
	v_mul_f32_e32 v11, v27, v12
	v_fmac_f32_e32 v8, v24, v10
	;; [unrolled: 9-line block ×3, first 2 shown]
	v_mul_f32_e32 v14, v23, v17
	v_fma_f32 v15, v22, v17, -v15
	v_mul_f32_e32 v17, v78, v18
	v_fmac_f32_e32 v14, v22, v16
	v_mul_f32_e32 v16, v78, v19
	v_fma_f32 v17, v77, v19, -v17
	v_add_f32_e32 v19, v6, v10
	v_fma_f32 v19, -0.5, v19, v0
	v_sub_f32_e32 v20, v3, v15
	v_mov_b32_e32 v21, v19
	v_fmac_f32_e32 v21, 0xbf737871, v20
	v_sub_f32_e32 v22, v7, v11
	v_sub_f32_e32 v23, v2, v6
	;; [unrolled: 1-line block ×3, first 2 shown]
	v_fmac_f32_e32 v19, 0x3f737871, v20
	v_fmac_f32_e32 v21, 0xbf167918, v22
	v_add_f32_e32 v23, v23, v24
	v_fmac_f32_e32 v19, 0x3f167918, v22
	v_fmac_f32_e32 v21, 0x3e9e377a, v23
	v_fmac_f32_e32 v19, 0x3e9e377a, v23
	v_add_f32_e32 v23, v2, v14
	v_fma_f32 v23, -0.5, v23, v0
	v_mov_b32_e32 v24, v23
	v_fmac_f32_e32 v16, v77, v18
	v_add_f32_e32 v18, v0, v2
	v_fmac_f32_e32 v24, 0x3f737871, v22
	v_sub_f32_e32 v0, v6, v2
	v_sub_f32_e32 v25, v10, v14
	v_fmac_f32_e32 v23, 0xbf737871, v22
	v_fmac_f32_e32 v24, 0xbf167918, v20
	v_add_f32_e32 v0, v0, v25
	v_fmac_f32_e32 v23, 0x3f167918, v20
	v_fmac_f32_e32 v24, 0x3e9e377a, v0
	;; [unrolled: 1-line block ×3, first 2 shown]
	v_add_f32_e32 v0, v1, v3
	v_add_f32_e32 v0, v0, v7
	;; [unrolled: 1-line block ×5, first 2 shown]
	v_fma_f32 v22, -0.5, v0, v1
	v_add_f32_e32 v18, v18, v6
	v_sub_f32_e32 v0, v2, v14
	v_mov_b32_e32 v25, v22
	v_add_f32_e32 v18, v18, v10
	v_fmac_f32_e32 v25, 0x3f737871, v0
	v_sub_f32_e32 v2, v6, v10
	v_sub_f32_e32 v6, v3, v7
	;; [unrolled: 1-line block ×3, first 2 shown]
	v_fmac_f32_e32 v22, 0xbf737871, v0
	v_fmac_f32_e32 v25, 0x3f167918, v2
	v_add_f32_e32 v6, v6, v10
	v_fmac_f32_e32 v22, 0xbf167918, v2
	v_fmac_f32_e32 v25, 0x3e9e377a, v6
	;; [unrolled: 1-line block ×3, first 2 shown]
	v_add_f32_e32 v6, v3, v15
	v_fma_f32 v26, -0.5, v6, v1
	v_mov_b32_e32 v27, v26
	v_fmac_f32_e32 v27, 0xbf737871, v2
	v_fmac_f32_e32 v26, 0x3f737871, v2
	;; [unrolled: 1-line block ×4, first 2 shown]
	v_add_f32_e32 v0, v38, v4
	v_add_f32_e32 v0, v0, v8
	;; [unrolled: 1-line block ×5, first 2 shown]
	v_sub_f32_e32 v1, v7, v3
	v_sub_f32_e32 v3, v11, v15
	v_fma_f32 v11, -0.5, v0, v38
	v_add_f32_e32 v1, v1, v3
	v_sub_f32_e32 v0, v5, v17
	v_mov_b32_e32 v3, v11
	v_fmac_f32_e32 v27, 0x3e9e377a, v1
	v_fmac_f32_e32 v26, 0x3e9e377a, v1
	;; [unrolled: 1-line block ×3, first 2 shown]
	v_sub_f32_e32 v1, v9, v13
	v_sub_f32_e32 v2, v4, v8
	;; [unrolled: 1-line block ×3, first 2 shown]
	v_fmac_f32_e32 v11, 0x3f737871, v0
	v_fmac_f32_e32 v3, 0xbf167918, v1
	v_add_f32_e32 v2, v2, v6
	v_fmac_f32_e32 v11, 0x3f167918, v1
	v_fmac_f32_e32 v3, 0x3e9e377a, v2
	;; [unrolled: 1-line block ×3, first 2 shown]
	v_add_f32_e32 v2, v4, v16
	v_fmac_f32_e32 v38, -0.5, v2
	v_mov_b32_e32 v7, v38
	v_fmac_f32_e32 v7, 0x3f737871, v1
	v_fmac_f32_e32 v38, 0xbf737871, v1
	;; [unrolled: 1-line block ×4, first 2 shown]
	v_add_f32_e32 v0, v32, v5
	v_add_f32_e32 v0, v0, v9
	;; [unrolled: 1-line block ×6, first 2 shown]
	v_sub_f32_e32 v2, v8, v4
	v_sub_f32_e32 v6, v12, v16
	v_fma_f32 v14, -0.5, v0, v32
	v_add_f32_e32 v2, v2, v6
	v_sub_f32_e32 v0, v4, v16
	v_mov_b32_e32 v16, v14
	v_fmac_f32_e32 v7, 0x3e9e377a, v2
	v_fmac_f32_e32 v38, 0x3e9e377a, v2
	;; [unrolled: 1-line block ×3, first 2 shown]
	v_sub_f32_e32 v1, v8, v12
	v_sub_f32_e32 v2, v5, v9
	;; [unrolled: 1-line block ×3, first 2 shown]
	v_fmac_f32_e32 v14, 0xbf737871, v0
	v_fmac_f32_e32 v16, 0x3f167918, v1
	v_add_f32_e32 v2, v2, v4
	v_fmac_f32_e32 v14, 0xbf167918, v1
	v_fmac_f32_e32 v16, 0x3e9e377a, v2
	;; [unrolled: 1-line block ×3, first 2 shown]
	v_add_f32_e32 v2, v5, v17
	v_fmac_f32_e32 v32, -0.5, v2
	v_mov_b32_e32 v12, v32
	v_fmac_f32_e32 v12, 0xbf737871, v1
	v_sub_f32_e32 v2, v9, v5
	v_sub_f32_e32 v4, v13, v17
	v_fmac_f32_e32 v32, 0x3f737871, v1
	v_fmac_f32_e32 v12, 0x3f167918, v0
	v_add_f32_e32 v2, v2, v4
	v_fmac_f32_e32 v32, 0xbf167918, v0
	v_fmac_f32_e32 v12, 0x3e9e377a, v2
	v_fmac_f32_e32 v32, 0x3e9e377a, v2
	v_mul_f32_e32 v13, 0xbf167918, v16
	v_mul_f32_e32 v30, 0x3f4f1bbd, v16
	v_fmac_f32_e32 v13, 0x3f4f1bbd, v3
	v_mul_f32_e32 v17, 0xbf737871, v12
	v_mul_f32_e32 v28, 0xbf737871, v32
	;; [unrolled: 1-line block ×3, first 2 shown]
	v_fmac_f32_e32 v30, 0x3f167918, v3
	v_mul_f32_e32 v31, 0x3e9e377a, v12
	v_mul_f32_e32 v32, 0xbe9e377a, v32
	;; [unrolled: 1-line block ×3, first 2 shown]
	v_mad_u64_u32 v[36:37], s[0:1], s10, v66, 0
	v_add_f32_e32 v0, v18, v10
	v_add_f32_e32 v2, v21, v13
	v_fmac_f32_e32 v17, 0x3e9e377a, v7
	v_fmac_f32_e32 v28, 0xbe9e377a, v38
	;; [unrolled: 1-line block ×3, first 2 shown]
	v_add_f32_e32 v1, v20, v15
	v_add_f32_e32 v3, v25, v30
	v_fmac_f32_e32 v31, 0x3f737871, v7
	v_fmac_f32_e32 v32, 0x3f737871, v38
	;; [unrolled: 1-line block ×3, first 2 shown]
	v_add_f32_e32 v4, v24, v17
	v_add_f32_e32 v6, v23, v28
	;; [unrolled: 1-line block ×6, first 2 shown]
	v_sub_f32_e32 v10, v18, v10
	v_sub_f32_e32 v12, v21, v13
	;; [unrolled: 1-line block ×10, first 2 shown]
	ds_write2_b64 v79, v[0:1], v[2:3] offset1:9
	ds_write2_b64 v79, v[4:5], v[6:7] offset0:18 offset1:27
	ds_write2_b64 v79, v[8:9], v[10:11] offset0:36 offset1:45
	;; [unrolled: 1-line block ×4, first 2 shown]
	s_waitcnt lgkmcnt(0)
	; wave barrier
	s_waitcnt lgkmcnt(0)
	ds_read2_b64 v[0:3], v79 offset1:9
	v_mov_b32_e32 v4, v37
	v_mad_u64_u32 v[4:5], s[0:1], s11, v66, v[4:5]
	s_mov_b32 s2, 0x16c16c17
	s_waitcnt lgkmcnt(0)
	v_mul_f32_e32 v5, v76, v1
	v_fmac_f32_e32 v5, v75, v0
	v_cvt_f64_f32_e32 v[5:6], v5
	s_mov_b32 s3, 0x3f86c16c
	v_mad_u64_u32 v[8:9], s[0:1], s8, v81, 0
	v_mul_f64 v[5:6], v[5:6], s[2:3]
	v_mul_f32_e32 v0, v76, v0
	v_fma_f32 v0, v75, v1, -v0
	v_cvt_f64_f32_e32 v[0:1], v0
	v_mov_b32_e32 v37, v4
	v_mov_b32_e32 v4, v9
	;; [unrolled: 1-line block ×3, first 2 shown]
	v_mul_f64 v[0:1], v[0:1], s[2:3]
	v_mad_u64_u32 v[9:10], s[0:1], s9, v81, v[4:5]
	v_cvt_f32_f64_e32 v10, v[5:6]
	ds_read2_b64 v[4:7], v79 offset0:18 offset1:30
	v_lshlrev_b64 v[8:9], 3, v[8:9]
	v_cvt_f32_f64_e32 v11, v[0:1]
	s_waitcnt lgkmcnt(0)
	v_mul_f32_e32 v12, v74, v7
	v_fmac_f32_e32 v12, v73, v6
	v_mul_f32_e32 v6, v74, v6
	v_fma_f32 v6, v73, v7, -v6
	v_cvt_f64_f32_e32 v[12:13], v12
	v_cvt_f64_f32_e32 v[6:7], v6
	v_lshlrev_b64 v[0:1], 3, v[36:37]
	v_add_co_u32_e64 v16, s[0:1], s6, v0
	v_addc_co_u32_e64 v17, s[0:1], v14, v1, s[0:1]
	v_mul_f64 v[0:1], v[12:13], s[2:3]
	v_mul_f64 v[6:7], v[6:7], s[2:3]
	v_add_co_u32_e64 v12, s[0:1], v16, v8
	v_addc_co_u32_e64 v13, s[0:1], v17, v9, s[0:1]
	global_store_dwordx2 v[12:13], v[10:11], off
	v_mul_f32_e32 v14, v72, v3
	v_cvt_f32_f64_e32 v0, v[0:1]
	v_cvt_f32_f64_e32 v1, v[6:7]
	ds_read2_b64 v[6:9], v79 offset0:60 offset1:69
	v_fmac_f32_e32 v14, v71, v2
	v_mul_f32_e32 v2, v72, v2
	s_mul_i32 s0, s9, 30
	s_mul_hi_u32 s1, s8, 30
	s_waitcnt lgkmcnt(0)
	v_mul_f32_e32 v10, v68, v7
	v_fmac_f32_e32 v10, v67, v6
	v_cvt_f64_f32_e32 v[10:11], v10
	v_mul_f32_e32 v6, v68, v6
	v_fma_f32 v6, v67, v7, -v6
	v_cvt_f64_f32_e32 v[6:7], v6
	v_mul_f64 v[10:11], v[10:11], s[2:3]
	v_fma_f32 v2, v71, v3, -v2
	s_add_i32 s1, s1, s0
	s_mul_i32 s0, s8, 30
	v_mul_f64 v[6:7], v[6:7], s[2:3]
	v_cvt_f64_f32_e32 v[14:15], v14
	v_cvt_f64_f32_e32 v[2:3], v2
	s_lshl_b64 s[4:5], s[0:1], 3
	v_mov_b32_e32 v18, s5
	v_add_co_u32_e64 v12, s[0:1], s4, v12
	v_addc_co_u32_e64 v13, s[0:1], v13, v18, s[0:1]
	global_store_dwordx2 v[12:13], v[0:1], off
	v_cvt_f32_f64_e32 v0, v[10:11]
	v_mul_f64 v[10:11], v[14:15], s[2:3]
	v_mul_f64 v[2:3], v[2:3], s[2:3]
	v_cvt_f32_f64_e32 v1, v[6:7]
	v_add_co_u32_e64 v6, s[0:1], s4, v12
	v_addc_co_u32_e64 v7, s[0:1], v13, v18, s[0:1]
	global_store_dwordx2 v[6:7], v[0:1], off
	v_cvt_f32_f64_e32 v10, v[10:11]
	v_cvt_f32_f64_e32 v11, v[2:3]
	ds_read2_b64 v[0:3], v79 offset0:39 offset1:48
	v_mul_f32_e32 v14, v70, v9
	v_fmac_f32_e32 v14, v69, v8
	v_mul_f32_e32 v8, v70, v8
	v_fma_f32 v8, v69, v9, -v8
	s_waitcnt lgkmcnt(0)
	v_mul_f32_e32 v12, v61, v1
	v_fmac_f32_e32 v12, v60, v0
	v_cvt_f64_f32_e32 v[12:13], v12
	v_mul_f32_e32 v0, v61, v0
	v_fma_f32 v0, v60, v1, -v0
	v_cvt_f64_f32_e32 v[0:1], v0
	v_mul_f64 v[12:13], v[12:13], s[2:3]
	v_cvt_f64_f32_e32 v[8:9], v8
	s_mul_hi_u32 s1, s8, 0xffffffcd
	s_mul_i32 s0, s9, 0xffffffcd
	s_sub_i32 s1, s1, s8
	s_add_i32 s1, s1, s0
	s_mul_i32 s0, s8, 0xffffffcd
	v_mul_f64 v[0:1], v[0:1], s[2:3]
	v_cvt_f64_f32_e32 v[14:15], v14
	s_lshl_b64 s[6:7], s[0:1], 3
	v_mul_f64 v[8:9], v[8:9], s[2:3]
	v_mov_b32_e32 v19, s7
	v_add_co_u32_e64 v6, s[0:1], s6, v6
	v_addc_co_u32_e64 v7, s[0:1], v7, v19, s[0:1]
	global_store_dwordx2 v[6:7], v[10:11], off
	v_cvt_f32_f64_e32 v10, v[12:13]
	v_mul_f64 v[12:13], v[14:15], s[2:3]
	v_cvt_f32_f64_e32 v11, v[0:1]
	v_add_co_u32_e64 v0, s[0:1], s4, v6
	v_addc_co_u32_e64 v1, s[0:1], v7, v18, s[0:1]
	v_cvt_f32_f64_e32 v7, v[8:9]
	v_mul_f32_e32 v8, v65, v5
	v_fmac_f32_e32 v8, v64, v4
	v_mul_f32_e32 v4, v65, v4
	v_fma_f32 v4, v64, v5, -v4
	v_cvt_f32_f64_e32 v6, v[12:13]
	v_cvt_f64_f32_e32 v[8:9], v8
	v_cvt_f64_f32_e32 v[4:5], v4
	global_store_dwordx2 v[0:1], v[10:11], off
	v_add_co_u32_e64 v0, s[0:1], s4, v0
	v_addc_co_u32_e64 v1, s[0:1], v1, v18, s[0:1]
	global_store_dwordx2 v[0:1], v[6:7], off
	v_mul_f64 v[6:7], v[8:9], s[2:3]
	v_mul_f64 v[4:5], v[4:5], s[2:3]
	v_mul_f32_e32 v8, v63, v3
	v_fmac_f32_e32 v8, v62, v2
	v_mul_f32_e32 v2, v63, v2
	v_fma_f32 v2, v62, v3, -v2
	v_cvt_f64_f32_e32 v[8:9], v8
	v_cvt_f64_f32_e32 v[2:3], v2
	v_cvt_f32_f64_e32 v6, v[6:7]
	v_cvt_f32_f64_e32 v7, v[4:5]
	v_mul_f64 v[4:5], v[8:9], s[2:3]
	v_mul_f64 v[2:3], v[2:3], s[2:3]
	v_add_co_u32_e64 v0, s[0:1], s6, v0
	v_addc_co_u32_e64 v1, s[0:1], v1, v19, s[0:1]
	global_store_dwordx2 v[0:1], v[6:7], off
	v_mad_u64_u32 v[6:7], s[0:1], s8, v80, 0
	ds_read_b64 v[8:9], v79 offset:624
	v_cvt_f32_f64_e32 v4, v[4:5]
	v_cvt_f32_f64_e32 v5, v[2:3]
	v_mov_b32_e32 v2, v7
	v_mad_u64_u32 v[2:3], s[0:1], s9, v80, v[2:3]
	s_waitcnt lgkmcnt(0)
	v_mul_f32_e32 v3, v59, v9
	v_fmac_f32_e32 v3, v58, v8
	v_cvt_f64_f32_e32 v[10:11], v3
	v_mul_f32_e32 v3, v59, v8
	v_fma_f32 v3, v58, v9, -v3
	v_cvt_f64_f32_e32 v[8:9], v3
	v_mov_b32_e32 v7, v2
	v_mul_f64 v[10:11], v[10:11], s[2:3]
	v_lshlrev_b64 v[2:3], 3, v[6:7]
	v_mul_f64 v[6:7], v[8:9], s[2:3]
	v_add_co_u32_e64 v2, s[0:1], v16, v2
	v_mov_b32_e32 v9, 0x1e0
	v_addc_co_u32_e64 v3, s[0:1], v17, v3, s[0:1]
	v_mad_u64_u32 v[0:1], s[0:1], s8, v9, v[0:1]
	v_cvt_f32_f64_e32 v8, v[10:11]
	v_cvt_f32_f64_e32 v9, v[6:7]
	s_mul_i32 s0, s9, 0x1e0
	v_add_u32_e32 v1, s0, v1
	global_store_dwordx2 v[2:3], v[4:5], off
	global_store_dwordx2 v[0:1], v[8:9], off
	s_and_b64 exec, exec, vcc
	s_cbranch_execz .LBB0_23
; %bb.22:
	global_load_dwordx2 v[6:7], v[56:57], off offset:216
	global_load_dwordx2 v[8:9], v[56:57], off offset:456
	;; [unrolled: 1-line block ×3, first 2 shown]
	ds_read2_b64 v[2:5], v79 offset0:27 offset1:57
	ds_read_b64 v[12:13], v79 offset:696
	v_mov_b32_e32 v14, s7
	v_add_co_u32_e32 v0, vcc, s6, v0
	v_addc_co_u32_e32 v1, vcc, v1, v14, vcc
	v_mov_b32_e32 v16, s5
	s_waitcnt vmcnt(2) lgkmcnt(1)
	v_mul_f32_e32 v14, v3, v7
	v_mul_f32_e32 v7, v2, v7
	s_waitcnt vmcnt(1)
	v_mul_f32_e32 v15, v5, v9
	v_mul_f32_e32 v9, v4, v9
	v_fmac_f32_e32 v14, v2, v6
	v_fma_f32 v6, v6, v3, -v7
	s_waitcnt vmcnt(0) lgkmcnt(0)
	v_mul_f32_e32 v17, v13, v11
	v_mul_f32_e32 v11, v12, v11
	v_fmac_f32_e32 v15, v4, v8
	v_fma_f32 v8, v8, v5, -v9
	v_cvt_f64_f32_e32 v[2:3], v14
	v_cvt_f64_f32_e32 v[4:5], v6
	v_fmac_f32_e32 v17, v12, v10
	v_fma_f32 v12, v10, v13, -v11
	v_cvt_f64_f32_e32 v[6:7], v15
	v_cvt_f64_f32_e32 v[8:9], v8
	;; [unrolled: 1-line block ×4, first 2 shown]
	v_mul_f64 v[2:3], v[2:3], s[2:3]
	v_mul_f64 v[4:5], v[4:5], s[2:3]
	;; [unrolled: 1-line block ×6, first 2 shown]
	v_add_co_u32_e32 v14, vcc, s4, v0
	v_cvt_f32_f64_e32 v2, v[2:3]
	v_cvt_f32_f64_e32 v3, v[4:5]
	;; [unrolled: 1-line block ×4, first 2 shown]
	v_addc_co_u32_e32 v15, vcc, v1, v16, vcc
	v_cvt_f32_f64_e32 v6, v[10:11]
	v_cvt_f32_f64_e32 v7, v[12:13]
	v_add_co_u32_e32 v8, vcc, s4, v14
	v_addc_co_u32_e32 v9, vcc, v15, v16, vcc
	global_store_dwordx2 v[0:1], v[2:3], off
	global_store_dwordx2 v[14:15], v[4:5], off
	;; [unrolled: 1-line block ×3, first 2 shown]
.LBB0_23:
	s_endpgm
	.section	.rodata,"a",@progbits
	.p2align	6, 0x0
	.amdhsa_kernel bluestein_single_fwd_len90_dim1_sp_op_CI_CI
		.amdhsa_group_segment_fixed_size 5040
		.amdhsa_private_segment_fixed_size 0
		.amdhsa_kernarg_size 104
		.amdhsa_user_sgpr_count 6
		.amdhsa_user_sgpr_private_segment_buffer 1
		.amdhsa_user_sgpr_dispatch_ptr 0
		.amdhsa_user_sgpr_queue_ptr 0
		.amdhsa_user_sgpr_kernarg_segment_ptr 1
		.amdhsa_user_sgpr_dispatch_id 0
		.amdhsa_user_sgpr_flat_scratch_init 0
		.amdhsa_user_sgpr_private_segment_size 0
		.amdhsa_uses_dynamic_stack 0
		.amdhsa_system_sgpr_private_segment_wavefront_offset 0
		.amdhsa_system_sgpr_workgroup_id_x 1
		.amdhsa_system_sgpr_workgroup_id_y 0
		.amdhsa_system_sgpr_workgroup_id_z 0
		.amdhsa_system_sgpr_workgroup_info 0
		.amdhsa_system_vgpr_workitem_id 0
		.amdhsa_next_free_vgpr 109
		.amdhsa_next_free_sgpr 16
		.amdhsa_reserve_vcc 1
		.amdhsa_reserve_flat_scratch 0
		.amdhsa_float_round_mode_32 0
		.amdhsa_float_round_mode_16_64 0
		.amdhsa_float_denorm_mode_32 3
		.amdhsa_float_denorm_mode_16_64 3
		.amdhsa_dx10_clamp 1
		.amdhsa_ieee_mode 1
		.amdhsa_fp16_overflow 0
		.amdhsa_exception_fp_ieee_invalid_op 0
		.amdhsa_exception_fp_denorm_src 0
		.amdhsa_exception_fp_ieee_div_zero 0
		.amdhsa_exception_fp_ieee_overflow 0
		.amdhsa_exception_fp_ieee_underflow 0
		.amdhsa_exception_fp_ieee_inexact 0
		.amdhsa_exception_int_div_zero 0
	.end_amdhsa_kernel
	.text
.Lfunc_end0:
	.size	bluestein_single_fwd_len90_dim1_sp_op_CI_CI, .Lfunc_end0-bluestein_single_fwd_len90_dim1_sp_op_CI_CI
                                        ; -- End function
	.section	.AMDGPU.csdata,"",@progbits
; Kernel info:
; codeLenInByte = 8044
; NumSgprs: 20
; NumVgprs: 109
; ScratchSize: 0
; MemoryBound: 0
; FloatMode: 240
; IeeeMode: 1
; LDSByteSize: 5040 bytes/workgroup (compile time only)
; SGPRBlocks: 2
; VGPRBlocks: 27
; NumSGPRsForWavesPerEU: 20
; NumVGPRsForWavesPerEU: 109
; Occupancy: 2
; WaveLimiterHint : 1
; COMPUTE_PGM_RSRC2:SCRATCH_EN: 0
; COMPUTE_PGM_RSRC2:USER_SGPR: 6
; COMPUTE_PGM_RSRC2:TRAP_HANDLER: 0
; COMPUTE_PGM_RSRC2:TGID_X_EN: 1
; COMPUTE_PGM_RSRC2:TGID_Y_EN: 0
; COMPUTE_PGM_RSRC2:TGID_Z_EN: 0
; COMPUTE_PGM_RSRC2:TIDIG_COMP_CNT: 0
	.type	__hip_cuid_874fea41593733e2,@object ; @__hip_cuid_874fea41593733e2
	.section	.bss,"aw",@nobits
	.globl	__hip_cuid_874fea41593733e2
__hip_cuid_874fea41593733e2:
	.byte	0                               ; 0x0
	.size	__hip_cuid_874fea41593733e2, 1

	.ident	"AMD clang version 19.0.0git (https://github.com/RadeonOpenCompute/llvm-project roc-6.4.0 25133 c7fe45cf4b819c5991fe208aaa96edf142730f1d)"
	.section	".note.GNU-stack","",@progbits
	.addrsig
	.addrsig_sym __hip_cuid_874fea41593733e2
	.amdgpu_metadata
---
amdhsa.kernels:
  - .args:
      - .actual_access:  read_only
        .address_space:  global
        .offset:         0
        .size:           8
        .value_kind:     global_buffer
      - .actual_access:  read_only
        .address_space:  global
        .offset:         8
        .size:           8
        .value_kind:     global_buffer
      - .actual_access:  read_only
        .address_space:  global
        .offset:         16
        .size:           8
        .value_kind:     global_buffer
      - .actual_access:  read_only
        .address_space:  global
        .offset:         24
        .size:           8
        .value_kind:     global_buffer
      - .actual_access:  read_only
        .address_space:  global
        .offset:         32
        .size:           8
        .value_kind:     global_buffer
      - .offset:         40
        .size:           8
        .value_kind:     by_value
      - .address_space:  global
        .offset:         48
        .size:           8
        .value_kind:     global_buffer
      - .address_space:  global
        .offset:         56
        .size:           8
        .value_kind:     global_buffer
      - .address_space:  global
        .offset:         64
        .size:           8
        .value_kind:     global_buffer
      - .address_space:  global
        .offset:         72
        .size:           8
        .value_kind:     global_buffer
      - .offset:         80
        .size:           4
        .value_kind:     by_value
      - .address_space:  global
        .offset:         88
        .size:           8
        .value_kind:     global_buffer
      - .address_space:  global
        .offset:         96
        .size:           8
        .value_kind:     global_buffer
    .group_segment_fixed_size: 5040
    .kernarg_segment_align: 8
    .kernarg_segment_size: 104
    .language:       OpenCL C
    .language_version:
      - 2
      - 0
    .max_flat_workgroup_size: 63
    .name:           bluestein_single_fwd_len90_dim1_sp_op_CI_CI
    .private_segment_fixed_size: 0
    .sgpr_count:     20
    .sgpr_spill_count: 0
    .symbol:         bluestein_single_fwd_len90_dim1_sp_op_CI_CI.kd
    .uniform_work_group_size: 1
    .uses_dynamic_stack: false
    .vgpr_count:     109
    .vgpr_spill_count: 0
    .wavefront_size: 64
amdhsa.target:   amdgcn-amd-amdhsa--gfx906
amdhsa.version:
  - 1
  - 2
...

	.end_amdgpu_metadata
